;; amdgpu-corpus repo=linkedin/Liger-Kernel kind=triton arch=gfx950 opt=O3 lang=triton
	.amdgcn_target "amdgcn-amd-amdhsa--gfx950"
	.amdhsa_code_object_version 5
	.text
	.globl	_rms_norm_backward_kernel       ; -- Begin function _rms_norm_backward_kernel
	.p2align	8
	.type	_rms_norm_backward_kernel,@function
_rms_norm_backward_kernel:              ; @_rms_norm_backward_kernel
.Lfunc_begin0:
	.cfi_sections .debug_frame
	.cfi_startproc
; %bb.11:
	.file	1 "/root/src/amdgpu-assembly/repos/linkedin__Liger-Kernel/triton_aot_kernels" "rms_norm_aot.py"
	.loc	1 93 0 prologue_end             ; rms_norm_aot.py:93:0
	s_load_dwordx2 s[2:3], s[0:1], 0x0
	s_load_dwordx8 s[4:11], s[0:1], 0x8
	s_load_dwordx4 s[12:15], s[0:1], 0x28
	s_waitcnt lgkmcnt(0)
	s_branch .LBB0_0
	.loc	1 0 0 is_stmt 0                 ; :0:0
.Ltmp0:
	.p2align	8
; %bb.12:
.LBB0_0:
	s_load_dwordx2 s[18:19], s[0:1], 0x5c
	s_load_dword s5, s[0:1], 0x68
	s_load_dwordx2 s[38:39], s[0:1], 0x50
	s_mov_b64 s[40:41], s[14:15]
.Ltmp1:
	.file	2 "/root/.local/lib/python3.13/site-packages/triton/language" "standard.py"
	.loc	2 293 36 is_stmt 1              ; standard.py:293:36 @[ rms_norm_aot.py:169:77 ]
	v_readfirstlane_b32 s17, v0
	s_waitcnt lgkmcnt(0)
	s_ashr_i32 s15, s18, 31
	s_ashr_i32 s9, s5, 31
.Ltmp2:
	.loc	1 121 31                        ; rms_norm_aot.py:121:31
	s_mul_i32 s44, s5, s16
	s_mov_b32 s14, s18
	s_mul_hi_i32 s45, s5, s16
	.loc	1 122 39                        ; rms_norm_aot.py:122:39
	s_add_u32 s20, s44, s5
	s_addc_u32 s21, s45, s9
	.loc	1 122 57 is_stmt 0              ; rms_norm_aot.py:122:57
	v_mov_b64_e32 v[2:3], s[14:15]
	v_cmp_lt_i64_e32 vcc, s[20:21], v[2:3]
	s_and_b64 s[22:23], vcc, exec
	s_cselect_b32 s47, s21, s15
	s_cselect_b32 s46, s20, s18
	.loc	1 123 31 is_stmt 1              ; rms_norm_aot.py:123:31
	v_and_b32_e32 v1, 63, v0
	s_and_b32 s5, s17, 0x1c0
	v_or_b32_e32 v47, s5, v1
	.loc	1 133 36                        ; rms_norm_aot.py:133:36
	v_mov_b64_e32 v[2:3], s[46:47]
	.loc	1 123 31                        ; rms_norm_aot.py:123:31
	v_or_b32_e32 v46, 0x200, v47
	v_or_b32_e32 v45, 0x400, v47
	;; [unrolled: 1-line block ×7, first 2 shown]
	.loc	1 133 36                        ; rms_norm_aot.py:133:36
	v_cmp_ge_i64_e32 vcc, s[44:45], v[2:3]
	.loc	1 124 25                        ; rms_norm_aot.py:124:25
	v_cmp_gt_i32_e64 s[36:37], s19, v47
	v_cmp_gt_i32_e64 s[14:15], s19, v46
	;; [unrolled: 1-line block ×8, first 2 shown]
	v_mov_b32_e32 v48, 0
	.loc	1 133 36                        ; rms_norm_aot.py:133:36
	s_cbranch_vccnz .LBB0_9
; %bb.1:                                ; %.lr.ph
	.loc	1 130 24                        ; rms_norm_aot.py:130:24
	v_lshlrev_b32_e32 v2, 1, v47
	v_bfrev_b32_e32 v3, 1
	v_cndmask_b32_e64 v49, v3, v2, s[36:37]
	v_lshlrev_b32_e32 v2, 1, v46
	v_cndmask_b32_e64 v50, v3, v2, s[14:15]
	v_lshlrev_b32_e32 v2, 1, v45
	;; [unrolled: 2-line block ×6, first 2 shown]
	s_and_b32 s41, s41, 0xffff
	s_mov_b32 s43, 0x27000
	s_mov_b32 s42, 0x7ffffffe
	v_cndmask_b32_e64 v55, v3, v2, s[22:23]
	v_lshlrev_b32_e32 v2, 1, v40
	v_cndmask_b32_e64 v56, v3, v2, s[24:25]
	buffer_load_ushort v2, v50, s[40:43], 0 offen
	buffer_load_ushort v3, v49, s[40:43], 0 offen
	;; [unrolled: 1-line block ×8, first 2 shown]
	.loc	1 169 38                        ; rms_norm_aot.py:169:38
	v_cvt_f32_i32_e32 v8, s19
	v_cmp_gt_u32_e64 s[20:21], 8, v0
	v_lshl_add_u32 v57, v0, 2, 0
	v_and_b32_e32 v0, 7, v0
	v_cmp_eq_u32_e32 vcc, 0, v0
	v_div_scale_f32 v0, s[54:55], v8, v8, -1.0
	v_rcp_f32_e32 v9, v0
	s_load_dwordx2 s[50:51], s[0:1], 0x40
	s_load_dword s52, s[0:1], 0x48
	s_load_dword s40, s[0:1], 0x64
	v_cmp_eq_u32_e64 s[18:19], 0, v1
	s_and_b64 s[48:49], s[20:21], vcc
	v_fma_f32 v11, -v0, v9, 1.0
	v_div_scale_f32 v1, vcc, -1.0, v8, -1.0
	v_fmac_f32_e32 v9, v11, v9
	v_mul_f32_e32 v11, v1, v9
	.loc	1 138 41                        ; rms_norm_aot.py:138:41
	s_waitcnt lgkmcnt(0)
	s_ashr_i32 s53, s52, 31
	.loc	1 169 38                        ; rms_norm_aot.py:169:38
	v_fma_f32 v13, -v0, v11, v1
	.loc	1 133 36                        ; rms_norm_aot.py:133:36
	s_mul_hi_u32 s55, s44, s52
	s_mul_i32 s57, s44, s53
	.loc	1 169 38                        ; rms_norm_aot.py:169:38
	v_fmac_f32_e32 v11, v13, v9
	s_lshr_b32 s17, s17, 4
	.loc	1 133 36                        ; rms_norm_aot.py:133:36
	s_mul_i32 s56, s45, s52
	s_add_i32 s55, s55, s57
	.loc	1 169 38                        ; rms_norm_aot.py:169:38
	v_fma_f32 v0, -v0, v11, v1
	s_and_b32 s17, s17, 28
	.loc	1 133 36                        ; rms_norm_aot.py:133:36
	s_mul_i32 s54, s44, s52
	s_add_i32 s55, s55, s56
	.loc	1 169 38                        ; rms_norm_aot.py:169:38
	v_div_fmas_f32 v0, v0, v9, v11
	.loc	1 134 37                        ; rms_norm_aot.py:134:37
	s_ashr_i32 s5, s4, 31
	.loc	1 135 37                        ; rms_norm_aot.py:135:37
	s_ashr_i32 s9, s8, 31
	;; [unrolled: 2-line block ×3, first 2 shown]
	s_add_i32 s17, s17, 0
	.loc	1 133 36                        ; rms_norm_aot.py:133:36
	s_lshl_b64 s[54:55], s[54:55], 1
	.loc	1 169 38                        ; rms_norm_aot.py:169:38
	v_div_fixup_f32 v0, v0, v8, -1.0
	.loc	1 133 36                        ; rms_norm_aot.py:133:36
	s_mul_hi_u32 s33, s44, s12
	s_mul_i32 s41, s44, s13
	s_add_u32 s50, s50, s54
	.loc	1 169 34                        ; rms_norm_aot.py:169:34
	v_add_f32_e32 v58, 0, v0
	.loc	1 133 36                        ; rms_norm_aot.py:133:36
	s_addc_u32 s51, s51, s55
	s_add_i32 s33, s33, s41
	s_lshl_b64 s[52:53], s[52:53], 1
	s_movk_i32 s55, 0x7fff
	v_mov_b32_e32 v59, 0
	v_mov_b32_e32 v60, 1
	v_mov_b32_e32 v61, 0x7fff0000
	.loc	1 131 24                        ; rms_norm_aot.py:131:24
	s_waitcnt vmcnt(7)
	v_lshlrev_b32_e32 v1, 16, v2
	s_waitcnt vmcnt(6)
	v_lshlrev_b32_e32 v0, 16, v3
	;; [unrolled: 2-line block ×8, first 2 shown]
	v_pk_add_f32 v[4:5], s[40:41], v[0:1] op_sel_hi:[0,1]
	v_pk_add_f32 v[6:7], s[40:41], v[2:3] op_sel_hi:[0,1]
	;; [unrolled: 1-line block ×4, first 2 shown]
	.loc	1 133 36                        ; rms_norm_aot.py:133:36
	s_mul_i32 s40, s45, s12
	s_add_i32 s41, s33, s40
	s_mul_i32 s40, s44, s12
	s_lshl_b64 s[40:41], s[40:41], 1
	s_add_u32 s33, s10, s40
	s_addc_u32 s54, s11, s41
	s_lshl_b64 s[10:11], s[12:13], 1
	s_mul_hi_u32 s12, s44, s8
	s_mul_i32 s13, s44, s9
	s_add_i32 s12, s12, s13
	s_mul_i32 s13, s45, s8
	s_add_i32 s13, s12, s13
	s_mul_i32 s12, s44, s8
	s_lshl_b64 s[12:13], s[12:13], 1
	s_add_u32 s12, s6, s12
	s_addc_u32 s13, s7, s13
	s_lshl_b64 s[6:7], s[8:9], 1
	s_mul_hi_u32 s8, s44, s4
	s_mul_i32 s9, s44, s5
	s_add_i32 s8, s8, s9
	s_mul_i32 s9, s45, s4
	s_add_i32 s9, s8, s9
	s_mul_i32 s8, s44, s4
	s_lshl_b64 s[8:9], s[8:9], 1
	s_add_u32 s8, s2, s8
	v_mov_b32_e32 v0, 0
	s_addc_u32 s9, s3, s9
	s_lshl_b64 s[2:3], s[4:5], 1
	v_mov_b32_e32 v1, v0
	v_mov_b32_e32 v2, v0
	;; [unrolled: 1-line block ×7, first 2 shown]
	s_branch .LBB0_3
.LBB0_2:                                ;   in Loop: Header=BB0_3 Depth=1
	.loc	1 0 36 is_stmt 0                ; rms_norm_aot.py:0:36
	s_or_b64 exec, exec, s[4:5]
.Ltmp3:
	.loc	2 293 36 is_stmt 1              ; standard.py:293:36 @[ rms_norm_aot.py:169:77 ]
	s_waitcnt lgkmcnt(0)
	s_barrier
	ds_read_b32 v63, v59
.Ltmp4:
	.loc	1 167 28                        ; rms_norm_aot.py:167:28
	s_waitcnt vmcnt(0)
	v_lshlrev_b32_e32 v62, 16, v62
	.loc	1 169 48                        ; rms_norm_aot.py:169:48
	v_mul_f32_e32 v64, v58, v62
	.loc	1 169 59 is_stmt 0              ; rms_norm_aot.py:169:59
	v_mul_f32_e32 v64, v64, v62
	.loc	1 179 40 is_stmt 1              ; rms_norm_aot.py:179:40
	s_and_b32 s41, s13, 0xffff
	.loc	1 169 70                        ; rms_norm_aot.py:169:70
	s_waitcnt lgkmcnt(0)
	v_mul_f32_e32 v64, v64, v63
	.loc	1 169 98 is_stmt 0              ; rms_norm_aot.py:169:98
	v_pk_mul_f32 v[66:67], v[64:65], v[24:25] op_sel_hi:[0,1]
	.loc	1 174 44 is_stmt 1              ; rms_norm_aot.py:174:44
	v_pk_mul_f32 v[24:25], v[62:63], v[24:25] op_sel_hi:[0,1]
	.loc	1 174 57 is_stmt 0              ; rms_norm_aot.py:174:57
	v_cvt_pk_bf16_f32 v24, v24, v25
	.loc	1 174 35                        ; rms_norm_aot.py:174:35
	v_and_b32_e32 v25, 0xffff0000, v24
	v_lshlrev_b32_e32 v24, 16, v24
	v_pk_mul_f32 v[22:23], v[22:23], v[24:25]
	.loc	1 169 32 is_stmt 1              ; rms_norm_aot.py:169:32
	v_pk_mul_f32 v[66:67], v[66:67], v[62:63] op_sel_hi:[1,0]
	.loc	1 174 35                        ; rms_norm_aot.py:174:35
	v_and_b32_sdwa v24, v23, v60 dst_sel:DWORD dst_unused:UNUSED_PAD src0_sel:WORD_1 src1_sel:DWORD
	v_and_b32_sdwa v25, v22, v60 dst_sel:DWORD dst_unused:UNUSED_PAD src0_sel:WORD_1 src1_sel:DWORD
	v_add3_u32 v24, v23, v24, s55
	.loc	1 169 18                        ; rms_norm_aot.py:169:18
	v_pk_fma_f32 v[32:33], v[32:33], v[62:63], v[66:67] op_sel_hi:[1,0,1]
	.loc	1 169 98 is_stmt 0              ; rms_norm_aot.py:169:98
	v_pk_mul_f32 v[66:67], v[64:65], v[26:27] op_sel_hi:[0,1]
	.loc	1 174 44 is_stmt 1              ; rms_norm_aot.py:174:44
	v_pk_mul_f32 v[26:27], v[62:63], v[26:27] op_sel_hi:[0,1]
	.loc	1 174 35 is_stmt 0              ; rms_norm_aot.py:174:35
	v_add3_u32 v25, v22, v25, s55
	.loc	1 174 26                        ; rms_norm_aot.py:174:26
	v_and_b32_e32 v24, 0xffff0000, v24
	.loc	1 174 35                        ; rms_norm_aot.py:174:35
	v_cmp_o_f32_e32 vcc, v23, v23
	.loc	1 174 57                        ; rms_norm_aot.py:174:57
	v_cvt_pk_bf16_f32 v26, v26, v27
	.loc	1 174 26                        ; rms_norm_aot.py:174:26
	v_and_b32_e32 v25, 0xffff0000, v25
	.loc	1 174 35                        ; rms_norm_aot.py:174:35
	v_cndmask_b32_e32 v23, v61, v24, vcc
	v_cmp_o_f32_e32 vcc, v22, v22
	v_lshlrev_b32_e32 v24, 16, v26
	.loc	1 169 32 is_stmt 1              ; rms_norm_aot.py:169:32
	v_pk_mul_f32 v[66:67], v[66:67], v[62:63] op_sel_hi:[1,0]
	.loc	1 174 35                        ; rms_norm_aot.py:174:35
	v_cndmask_b32_e32 v22, v61, v25, vcc
	v_and_b32_e32 v25, 0xffff0000, v26
	v_pk_mul_f32 v[20:21], v[20:21], v[24:25]
	.loc	1 169 18                        ; rms_norm_aot.py:169:18
	v_pk_fma_f32 v[34:35], v[34:35], v[62:63], v[66:67] op_sel_hi:[1,0,1]
	.loc	1 174 35                        ; rms_norm_aot.py:174:35
	v_and_b32_sdwa v24, v21, v60 dst_sel:DWORD dst_unused:UNUSED_PAD src0_sel:WORD_1 src1_sel:DWORD
	v_and_b32_sdwa v25, v20, v60 dst_sel:DWORD dst_unused:UNUSED_PAD src0_sel:WORD_1 src1_sel:DWORD
	v_add3_u32 v24, v21, v24, s55
	.loc	1 169 98                        ; rms_norm_aot.py:169:98
	v_pk_mul_f32 v[66:67], v[64:65], v[28:29] op_sel_hi:[0,1]
	.loc	1 174 44                        ; rms_norm_aot.py:174:44
	v_pk_mul_f32 v[28:29], v[62:63], v[28:29] op_sel_hi:[0,1]
	.loc	1 174 35 is_stmt 0              ; rms_norm_aot.py:174:35
	v_add3_u32 v25, v20, v25, s55
	.loc	1 174 26                        ; rms_norm_aot.py:174:26
	v_and_b32_e32 v24, 0xffff0000, v24
	.loc	1 174 35                        ; rms_norm_aot.py:174:35
	v_cmp_o_f32_e32 vcc, v21, v21
	.loc	1 174 57                        ; rms_norm_aot.py:174:57
	v_cvt_pk_bf16_f32 v27, v28, v29
	.loc	1 174 26                        ; rms_norm_aot.py:174:26
	v_and_b32_e32 v25, 0xffff0000, v25
	.loc	1 174 35                        ; rms_norm_aot.py:174:35
	v_cndmask_b32_e32 v21, v61, v24, vcc
	v_cmp_o_f32_e32 vcc, v20, v20
	v_lshlrev_b32_e32 v24, 16, v27
	.loc	1 169 98 is_stmt 1              ; rms_norm_aot.py:169:98
	v_pk_mul_f32 v[64:65], v[64:65], v[30:31] op_sel_hi:[0,1]
	.loc	1 174 35                        ; rms_norm_aot.py:174:35
	v_cndmask_b32_e32 v20, v61, v25, vcc
	v_and_b32_e32 v25, 0xffff0000, v27
	v_pk_mul_f32 v[18:19], v[18:19], v[24:25]
	.loc	1 174 44 is_stmt 0              ; rms_norm_aot.py:174:44
	v_pk_mul_f32 v[30:31], v[62:63], v[30:31] op_sel_hi:[0,1]
	.loc	1 174 35                        ; rms_norm_aot.py:174:35
	v_and_b32_sdwa v24, v19, v60 dst_sel:DWORD dst_unused:UNUSED_PAD src0_sel:WORD_1 src1_sel:DWORD
	v_and_b32_sdwa v25, v18, v60 dst_sel:DWORD dst_unused:UNUSED_PAD src0_sel:WORD_1 src1_sel:DWORD
	v_add3_u32 v24, v19, v24, s55
	v_add3_u32 v25, v18, v25, s55
	.loc	1 174 26                        ; rms_norm_aot.py:174:26
	v_and_b32_e32 v24, 0xffff0000, v24
	.loc	1 174 35                        ; rms_norm_aot.py:174:35
	v_cmp_o_f32_e32 vcc, v19, v19
	.loc	1 174 57                        ; rms_norm_aot.py:174:57
	v_cvt_pk_bf16_f32 v28, v30, v31
	.loc	1 174 26                        ; rms_norm_aot.py:174:26
	v_and_b32_e32 v25, 0xffff0000, v25
	.loc	1 174 35                        ; rms_norm_aot.py:174:35
	v_cndmask_b32_e32 v19, v61, v24, vcc
	v_cmp_o_f32_e32 vcc, v18, v18
	v_lshlrev_b32_e32 v24, 16, v28
	.loc	1 133 36 is_stmt 1              ; rms_norm_aot.py:133:36
	s_add_u32 s44, s44, 1
	.loc	1 174 35                        ; rms_norm_aot.py:174:35
	v_cndmask_b32_e32 v18, v61, v25, vcc
	v_and_b32_e32 v25, 0xffff0000, v28
	v_pk_mul_f32 v[16:17], v[16:17], v[24:25]
	.loc	1 133 36                        ; rms_norm_aot.py:133:36
	s_addc_u32 s45, s45, 0
	.loc	1 174 35                        ; rms_norm_aot.py:174:35
	v_and_b32_sdwa v24, v17, v60 dst_sel:DWORD dst_unused:UNUSED_PAD src0_sel:WORD_1 src1_sel:DWORD
	v_and_b32_sdwa v25, v16, v60 dst_sel:DWORD dst_unused:UNUSED_PAD src0_sel:WORD_1 src1_sel:DWORD
	v_add3_u32 v24, v17, v24, s55
	v_add3_u32 v25, v16, v25, s55
	.loc	1 174 26 is_stmt 0              ; rms_norm_aot.py:174:26
	v_and_b32_e32 v24, 0xffff0000, v24
	.loc	1 174 35                        ; rms_norm_aot.py:174:35
	v_cmp_o_f32_e32 vcc, v17, v17
	.loc	1 174 26                        ; rms_norm_aot.py:174:26
	v_and_b32_e32 v25, 0xffff0000, v25
	.loc	1 169 32 is_stmt 1              ; rms_norm_aot.py:169:32
	v_pk_mul_f32 v[66:67], v[66:67], v[62:63] op_sel_hi:[1,0]
	.loc	1 174 35                        ; rms_norm_aot.py:174:35
	v_cndmask_b32_e32 v17, v61, v24, vcc
	v_cmp_o_f32_e32 vcc, v16, v16
	.loc	1 179 40                        ; rms_norm_aot.py:179:40
	s_mov_b32 s40, s12
	.loc	1 133 36                        ; rms_norm_aot.py:133:36
	s_add_u32 s50, s50, s52
	.loc	1 174 35                        ; rms_norm_aot.py:174:35
	v_cndmask_b32_e32 v16, v61, v25, vcc
	.loc	1 174 26 is_stmt 0              ; rms_norm_aot.py:174:26
	v_pk_add_f32 v[0:1], v[0:1], v[16:17]
	.loc	1 179 50 is_stmt 1              ; rms_norm_aot.py:179:50
	v_cvt_pk_bf16_f32 v16, v32, v33
	.loc	1 169 18                        ; rms_norm_aot.py:169:18
	v_pk_fma_f32 v[36:37], v[36:37], v[62:63], v[66:67] op_sel_hi:[1,0,1]
	.loc	1 169 32 is_stmt 0              ; rms_norm_aot.py:169:32
	v_pk_mul_f32 v[64:65], v[64:65], v[62:63] op_sel_hi:[1,0]
	.loc	1 179 50 is_stmt 1              ; rms_norm_aot.py:179:50
	v_cvt_pk_bf16_f32 v17, v34, v35
	.loc	1 179 40 is_stmt 0              ; rms_norm_aot.py:179:40
	buffer_store_short v16, v49, s[40:43], 0 offen
	v_lshrrev_b32_e32 v16, 16, v16
	.loc	1 133 36 is_stmt 1              ; rms_norm_aot.py:133:36
	s_addc_u32 s51, s51, s53
	.loc	1 169 18                        ; rms_norm_aot.py:169:18
	v_pk_fma_f32 v[38:39], v[38:39], v[62:63], v[64:65] op_sel_hi:[1,0,1]
	.loc	1 174 26                        ; rms_norm_aot.py:174:26
	v_pk_add_f32 v[2:3], v[2:3], v[18:19]
	.loc	1 179 50                        ; rms_norm_aot.py:179:50
	v_cvt_pk_bf16_f32 v18, v36, v37
	.loc	1 179 40 is_stmt 0              ; rms_norm_aot.py:179:40
	buffer_store_short v16, v50, s[40:43], 0 offen
	buffer_store_short v17, v51, s[40:43], 0 offen
	v_lshrrev_b32_e32 v16, 16, v17
	.loc	1 133 36 is_stmt 1              ; rms_norm_aot.py:133:36
	s_add_u32 s33, s33, s10
	.loc	1 179 50                        ; rms_norm_aot.py:179:50
	v_cvt_pk_bf16_f32 v19, v38, v39
	.loc	1 179 40 is_stmt 0              ; rms_norm_aot.py:179:40
	buffer_store_short v16, v52, s[40:43], 0 offen
	buffer_store_short v18, v53, s[40:43], 0 offen
	v_lshrrev_b32_e32 v16, 16, v18
	.loc	1 133 36 is_stmt 1              ; rms_norm_aot.py:133:36
	s_addc_u32 s54, s54, s11
	.loc	1 179 40                        ; rms_norm_aot.py:179:40
	buffer_store_short v16, v54, s[40:43], 0 offen
	buffer_store_short v19, v55, s[40:43], 0 offen
	v_lshrrev_b32_e32 v16, 16, v19
	.loc	1 133 36                        ; rms_norm_aot.py:133:36
	s_add_u32 s12, s12, s6
	.loc	1 179 40                        ; rms_norm_aot.py:179:40
	buffer_store_short v16, v56, s[40:43], 0 offen
	.loc	1 133 36                        ; rms_norm_aot.py:133:36
	s_addc_u32 s13, s13, s7
	v_mov_b64_e32 v[16:17], s[46:47]
	s_add_u32 s8, s8, s2
	v_cmp_lt_i64_e32 vcc, s[44:45], v[16:17]
	.loc	1 174 26                        ; rms_norm_aot.py:174:26
	v_pk_add_f32 v[14:15], v[14:15], v[22:23]
	v_pk_add_f32 v[12:13], v[12:13], v[20:21]
	.loc	1 133 36                        ; rms_norm_aot.py:133:36
	s_addc_u32 s9, s9, s3
	s_cbranch_vccz .LBB0_10
.LBB0_3:                                ; =>This Inner Loop Header: Depth=1
	.loc	1 140 25                        ; rms_norm_aot.py:140:25
	s_and_b32 s41, s9, 0xffff
	s_mov_b32 s40, s8
	buffer_load_ushort v16, v49, s[40:43], 0 offen
	buffer_load_ushort v17, v50, s[40:43], 0 offen
	;; [unrolled: 1-line block ×8, first 2 shown]
	.loc	1 141 24                        ; rms_norm_aot.py:141:24
	s_and_b32 s41, s54, 0xffff
	s_mov_b32 s40, s33
	buffer_load_ushort v28, v50, s[40:43], 0 offen
	buffer_load_ushort v29, v49, s[40:43], 0 offen
	;; [unrolled: 1-line block ×8, first 2 shown]
	.loc	1 144 27                        ; rms_norm_aot.py:144:27
	global_load_ushort v62, v48, s[50:51]
.Ltmp5:
	.loc	2 293 36                        ; standard.py:293:36 @[ rms_norm_aot.py:169:77 ]
	s_waitcnt lgkmcnt(0)
	s_barrier
.Ltmp6:
	.loc	1 151 30                        ; rms_norm_aot.py:151:30
	s_waitcnt vmcnt(16)
	v_lshlrev_b32_e32 v22, 16, v16
	s_waitcnt vmcnt(15)
	v_lshlrev_b32_e32 v23, 16, v17
	;; [unrolled: 2-line block ×6, first 2 shown]
	.loc	1 146 25                        ; rms_norm_aot.py:146:25
	s_waitcnt vmcnt(8)
	v_lshlrev_b32_e32 v25, 16, v28
	s_waitcnt vmcnt(7)
	v_lshlrev_b32_e32 v24, 16, v29
	.loc	1 151 30                        ; rms_norm_aot.py:151:30
	v_pk_mul_f32 v[32:33], v[4:5], v[22:23]
	v_lshlrev_b32_e32 v17, 16, v27
	v_lshlrev_b32_e32 v16, 16, v26
	.loc	1 146 25                        ; rms_norm_aot.py:146:25
	s_waitcnt vmcnt(6)
	v_lshlrev_b32_e32 v27, 16, v30
	s_waitcnt vmcnt(5)
	v_lshlrev_b32_e32 v26, 16, v31
	.loc	1 151 30                        ; rms_norm_aot.py:151:30
	v_pk_mul_f32 v[34:35], v[6:7], v[20:21]
	.loc	1 169 81                        ; rms_norm_aot.py:169:81
	v_pk_mul_f32 v[64:65], v[32:33], v[24:25]
	v_pk_mul_f32 v[66:67], v[34:35], v[26:27]
.Ltmp7:
	.loc	2 263 15                        ; standard.py:263:15 @[ standard.py:293:36 @[ rms_norm_aot.py:169:77 ] ]
	v_add_f32_e32 v63, v64, v65
.Ltmp8:
	.loc	1 146 25                        ; rms_norm_aot.py:146:25
	s_waitcnt vmcnt(4)
	v_lshlrev_b32_e32 v29, 16, v36
	s_waitcnt vmcnt(3)
	v_lshlrev_b32_e32 v28, 16, v37
	.loc	1 151 30                        ; rms_norm_aot.py:151:30
	v_pk_mul_f32 v[36:37], v[8:9], v[18:19]
.Ltmp9:
	.loc	2 263 15                        ; standard.py:263:15 @[ standard.py:293:36 @[ rms_norm_aot.py:169:77 ] ]
	v_add_f32_e32 v63, v63, v66
.Ltmp10:
	.loc	1 169 81                        ; rms_norm_aot.py:169:81
	v_pk_mul_f32 v[68:69], v[36:37], v[28:29]
.Ltmp11:
	.loc	2 263 15                        ; standard.py:263:15 @[ standard.py:293:36 @[ rms_norm_aot.py:169:77 ] ]
	v_add_f32_e32 v63, v63, v67
.Ltmp12:
	.loc	1 146 25                        ; rms_norm_aot.py:146:25
	s_waitcnt vmcnt(2)
	v_lshlrev_b32_e32 v31, 16, v38
	s_waitcnt vmcnt(1)
	v_lshlrev_b32_e32 v30, 16, v39
	.loc	1 151 30                        ; rms_norm_aot.py:151:30
	v_pk_mul_f32 v[38:39], v[10:11], v[16:17]
.Ltmp13:
	.loc	2 263 15                        ; standard.py:263:15 @[ standard.py:293:36 @[ rms_norm_aot.py:169:77 ] ]
	v_add_f32_e32 v63, v63, v68
.Ltmp14:
	.loc	1 169 81                        ; rms_norm_aot.py:169:81
	v_pk_mul_f32 v[70:71], v[38:39], v[30:31]
.Ltmp15:
	.loc	2 263 15                        ; standard.py:263:15 @[ standard.py:293:36 @[ rms_norm_aot.py:169:77 ] ]
	v_add_f32_e32 v63, v63, v69
	v_add_f32_e32 v63, v63, v70
	;; [unrolled: 1-line block ×3, first 2 shown]
	s_nop 1
	v_add_f32_dpp v63, v63, v63 row_shr:8 row_mask:0xf bank_mask:0xf bound_ctrl:1
	s_nop 1
	v_add_f32_dpp v63, v63, v63 row_shr:4 row_mask:0xf bank_mask:0xf bound_ctrl:1
	;; [unrolled: 2-line block ×4, first 2 shown]
.Ltmp16:
	.loc	2 293 36                        ; standard.py:293:36 @[ rms_norm_aot.py:169:77 ]
	v_mov_b32_e32 v64, v63
	s_nop 1
	v_mov_b32_dpp v64, v64 row_bcast:15 row_mask:0xa bank_mask:0xf bound_ctrl:1
.Ltmp17:
	.loc	2 263 15                        ; standard.py:263:15 @[ standard.py:293:36 @[ rms_norm_aot.py:169:77 ] ]
	v_add_f32_e32 v63, v64, v63
	s_nop 1
	v_add_f32_dpp v63, v63, v63 row_bcast:31 row_mask:0xf bank_mask:0xf bound_ctrl:1
.Ltmp18:
	.loc	2 293 36                        ; standard.py:293:36 @[ rms_norm_aot.py:169:77 ]
	s_nop 0
	v_readlane_b32 s40, v63, 63
	s_and_saveexec_b64 s[4:5], s[18:19]
; %bb.4:                                ;   in Loop: Header=BB0_3 Depth=1
	v_mov_b32_e32 v63, s17
	v_mov_b32_e32 v64, s40
	ds_write_b32 v63, v64
.Ltmp19:
; %bb.5:                                ;   in Loop: Header=BB0_3 Depth=1
	.loc	2 0 36 is_stmt 0                ; standard.py:0:36
	s_or_b64 exec, exec, s[4:5]
	.loc	1 169 77 is_stmt 1              ; rms_norm_aot.py:169:77
	v_mov_b32_e32 v63, 0
.Ltmp20:
	.loc	2 293 36                        ; standard.py:293:36 @[ rms_norm_aot.py:169:77 ]
	s_waitcnt lgkmcnt(0)
	s_barrier
	s_and_saveexec_b64 s[4:5], s[20:21]
; %bb.6:                                ;   in Loop: Header=BB0_3 Depth=1
	ds_read_b32 v63, v57
; %bb.7:                                ;   in Loop: Header=BB0_3 Depth=1
	.loc	2 0 36 is_stmt 0                ; standard.py:0:36
	s_or_b64 exec, exec, s[4:5]
	.loc	2 293 36                        ; standard.py:293:36 @[ rms_norm_aot.py:169:77 ]
	s_waitcnt lgkmcnt(0)
	v_mov_b32_e32 v64, v63
	s_nop 1
	v_mov_b32_dpp v64, v64 row_shr:4 row_mask:0xf bank_mask:0xa
	s_nop 1
	v_mov_b32_dpp v64, v63 row_shl:4 row_mask:0xf bank_mask:0x5
.Ltmp21:
	.loc	2 263 15 is_stmt 1              ; standard.py:263:15 @[ standard.py:293:36 @[ rms_norm_aot.py:169:77 ] ]
	v_add_f32_e32 v63, v63, v64
.Ltmp22:
	.loc	2 293 36                        ; standard.py:293:36 @[ rms_norm_aot.py:169:77 ]
	v_mov_b32_e32 v64, v63
	s_nop 1
	v_mov_b32_dpp v64, v64 quad_perm:[2,3,0,1] row_mask:0xf bank_mask:0xf
.Ltmp23:
	.loc	2 263 15                        ; standard.py:263:15 @[ standard.py:293:36 @[ rms_norm_aot.py:169:77 ] ]
	v_add_f32_e32 v63, v63, v64
.Ltmp24:
	.loc	2 293 36                        ; standard.py:293:36 @[ rms_norm_aot.py:169:77 ]
	v_mov_b32_e32 v64, v63
	s_nop 1
	v_mov_b32_dpp v64, v64 quad_perm:[1,0,3,2] row_mask:0xf bank_mask:0xf
	s_and_saveexec_b64 s[4:5], s[48:49]
	s_cbranch_execz .LBB0_2
; %bb.8:                                ;   in Loop: Header=BB0_3 Depth=1
	.loc	2 0 36 is_stmt 0                ; standard.py:0:36
	v_add_f32_e32 v63, v63, v64
	.loc	2 293 36                        ; standard.py:293:36 @[ rms_norm_aot.py:169:77 ]
	ds_write_b32 v57, v63
	s_branch .LBB0_2
.Ltmp25:
.LBB0_9:
	.loc	2 0 36                          ; standard.py:0:36
	v_mov_b32_e32 v15, 0
	v_mov_b32_e32 v14, v48
	;; [unrolled: 1-line block ×8, first 2 shown]
.LBB0_10:                               ; %Flow46
	s_load_dword s0, s[0:1], 0x58
	.loc	1 182 70 is_stmt 1              ; rms_norm_aot.py:182:70
	v_lshlrev_b32_e32 v4, 2, v47
	v_bfrev_b32_e32 v5, 1
	s_mov_b32 s3, 0x27000
	s_mov_b32 s2, 0x7ffffffe
	.loc	1 182 41 is_stmt 0              ; rms_norm_aot.py:182:41
	s_waitcnt lgkmcnt(0)
	s_mul_hi_i32 s1, s0, s16
	s_mul_i32 s0, s0, s16
	.loc	1 182 26                        ; rms_norm_aot.py:182:26
	s_lshl_b64 s[0:1], s[0:1], 2
	s_add_u32 s0, s38, s0
	s_addc_u32 s1, s39, s1
	.loc	1 182 70                        ; rms_norm_aot.py:182:70
	s_and_b32 s1, s1, 0xffff
	v_cndmask_b32_e64 v4, v5, v4, s[36:37]
	buffer_store_dword v14, v4, s[0:3], 0 offen
	v_lshlrev_b32_e32 v4, 2, v46
	v_cndmask_b32_e64 v4, v5, v4, s[14:15]
	buffer_store_dword v15, v4, s[0:3], 0 offen
	v_lshlrev_b32_e32 v4, 2, v45
	;; [unrolled: 3-line block ×7, first 2 shown]
	v_cndmask_b32_e64 v0, v5, v0, s[24:25]
	buffer_store_dword v1, v0, s[0:3], 0 offen
	.loc	1 181 4 is_stmt 1               ; rms_norm_aot.py:181:4
	s_endpgm
.Ltmp26:
	.section	.rodata,"a",@progbits
	.p2align	6, 0x0
	.amdhsa_kernel _rms_norm_backward_kernel
		.amdhsa_group_segment_fixed_size 0
		.amdhsa_private_segment_fixed_size 0
		.amdhsa_kernarg_size 128
		.amdhsa_user_sgpr_count 16
		.amdhsa_user_sgpr_dispatch_ptr 0
		.amdhsa_user_sgpr_queue_ptr 0
		.amdhsa_user_sgpr_kernarg_segment_ptr 1
		.amdhsa_user_sgpr_dispatch_id 0
		.amdhsa_user_sgpr_kernarg_preload_length 14
		.amdhsa_user_sgpr_kernarg_preload_offset 0
		.amdhsa_user_sgpr_private_segment_size 0
		.amdhsa_uses_dynamic_stack 0
		.amdhsa_enable_private_segment 0
		.amdhsa_system_sgpr_workgroup_id_x 1
		.amdhsa_system_sgpr_workgroup_id_y 0
		.amdhsa_system_sgpr_workgroup_id_z 0
		.amdhsa_system_sgpr_workgroup_info 0
		.amdhsa_system_vgpr_workitem_id 0
		.amdhsa_next_free_vgpr 72
		.amdhsa_next_free_sgpr 58
		.amdhsa_accum_offset 72
		.amdhsa_reserve_vcc 1
		.amdhsa_reserve_xnack_mask 1
		.amdhsa_float_round_mode_32 0
		.amdhsa_float_round_mode_16_64 0
		.amdhsa_float_denorm_mode_32 3
		.amdhsa_float_denorm_mode_16_64 3
		.amdhsa_dx10_clamp 1
		.amdhsa_ieee_mode 1
		.amdhsa_fp16_overflow 0
		.amdhsa_tg_split 0
		.amdhsa_exception_fp_ieee_invalid_op 0
		.amdhsa_exception_fp_denorm_src 0
		.amdhsa_exception_fp_ieee_div_zero 0
		.amdhsa_exception_fp_ieee_overflow 0
		.amdhsa_exception_fp_ieee_underflow 0
		.amdhsa_exception_fp_ieee_inexact 0
		.amdhsa_exception_int_div_zero 0
	.end_amdhsa_kernel
	.text
.Lfunc_end0:
	.size	_rms_norm_backward_kernel, .Lfunc_end0-_rms_norm_backward_kernel
	.cfi_endproc
                                        ; -- End function
	.set _rms_norm_backward_kernel.num_vgpr, 72
	.set _rms_norm_backward_kernel.num_agpr, 0
	.set _rms_norm_backward_kernel.numbered_sgpr, 58
	.set _rms_norm_backward_kernel.num_named_barrier, 0
	.set _rms_norm_backward_kernel.private_seg_size, 0
	.set _rms_norm_backward_kernel.uses_vcc, 1
	.set _rms_norm_backward_kernel.uses_flat_scratch, 0
	.set _rms_norm_backward_kernel.has_dyn_sized_stack, 0
	.set _rms_norm_backward_kernel.has_recursion, 0
	.set _rms_norm_backward_kernel.has_indirect_call, 0
	.section	.AMDGPU.csdata,"",@progbits
; Kernel info:
; codeLenInByte = 2788
; TotalNumSgprs: 64
; NumVgprs: 72
; NumAgprs: 0
; TotalNumVgprs: 72
; ScratchSize: 0
; MemoryBound: 0
; FloatMode: 240
; IeeeMode: 1
; LDSByteSize: 0 bytes/workgroup (compile time only)
; SGPRBlocks: 7
; VGPRBlocks: 8
; NumSGPRsForWavesPerEU: 64
; NumVGPRsForWavesPerEU: 72
; AccumOffset: 72
; Occupancy: 7
; WaveLimiterHint : 0
; COMPUTE_PGM_RSRC2:SCRATCH_EN: 0
; COMPUTE_PGM_RSRC2:USER_SGPR: 16
; COMPUTE_PGM_RSRC2:TRAP_HANDLER: 0
; COMPUTE_PGM_RSRC2:TGID_X_EN: 1
; COMPUTE_PGM_RSRC2:TGID_Y_EN: 0
; COMPUTE_PGM_RSRC2:TGID_Z_EN: 0
; COMPUTE_PGM_RSRC2:TIDIG_COMP_CNT: 0
; COMPUTE_PGM_RSRC3_GFX90A:ACCUM_OFFSET: 17
; COMPUTE_PGM_RSRC3_GFX90A:TG_SPLIT: 0
	.text
	.p2alignl 6, 3212836864
	.fill 256, 4, 3212836864
	.section	.AMDGPU.gpr_maximums,"",@progbits
	.set amdgpu.max_num_vgpr, 0
	.set amdgpu.max_num_agpr, 0
	.set amdgpu.max_num_sgpr, 0
	.set amdgpu.max_num_named_barrier, 0
	.text
	.section	.debug_abbrev,"",@progbits
	.byte	1                               ; Abbreviation Code
	.byte	17                              ; DW_TAG_compile_unit
	.byte	1                               ; DW_CHILDREN_yes
	.byte	37                              ; DW_AT_producer
	.byte	14                              ; DW_FORM_strp
	.byte	19                              ; DW_AT_language
	.byte	5                               ; DW_FORM_data2
	.byte	3                               ; DW_AT_name
	.byte	14                              ; DW_FORM_strp
	.byte	16                              ; DW_AT_stmt_list
	.byte	23                              ; DW_FORM_sec_offset
	.byte	27                              ; DW_AT_comp_dir
	.byte	14                              ; DW_FORM_strp
	.byte	17                              ; DW_AT_low_pc
	.byte	1                               ; DW_FORM_addr
	.byte	18                              ; DW_AT_high_pc
	.byte	6                               ; DW_FORM_data4
	.byte	0                               ; EOM(1)
	.byte	0                               ; EOM(2)
	.byte	2                               ; Abbreviation Code
	.byte	46                              ; DW_TAG_subprogram
	.byte	0                               ; DW_CHILDREN_no
	.byte	3                               ; DW_AT_name
	.byte	14                              ; DW_FORM_strp
	.byte	32                              ; DW_AT_inline
	.byte	11                              ; DW_FORM_data1
	.byte	0                               ; EOM(1)
	.byte	0                               ; EOM(2)
	.byte	3                               ; Abbreviation Code
	.byte	46                              ; DW_TAG_subprogram
	.byte	1                               ; DW_CHILDREN_yes
	.byte	17                              ; DW_AT_low_pc
	.byte	1                               ; DW_FORM_addr
	.byte	18                              ; DW_AT_high_pc
	.byte	6                               ; DW_FORM_data4
	.byte	49                              ; DW_AT_abstract_origin
	.byte	19                              ; DW_FORM_ref4
	.byte	0                               ; EOM(1)
	.byte	0                               ; EOM(2)
	.byte	4                               ; Abbreviation Code
	.byte	29                              ; DW_TAG_inlined_subroutine
	.byte	1                               ; DW_CHILDREN_yes
	.byte	49                              ; DW_AT_abstract_origin
	.byte	19                              ; DW_FORM_ref4
	.byte	85                              ; DW_AT_ranges
	.byte	23                              ; DW_FORM_sec_offset
	.byte	88                              ; DW_AT_call_file
	.byte	11                              ; DW_FORM_data1
	.byte	89                              ; DW_AT_call_line
	.byte	11                              ; DW_FORM_data1
	.byte	87                              ; DW_AT_call_column
	.byte	11                              ; DW_FORM_data1
	.byte	0                               ; EOM(1)
	.byte	0                               ; EOM(2)
	.byte	5                               ; Abbreviation Code
	.byte	29                              ; DW_TAG_inlined_subroutine
	.byte	0                               ; DW_CHILDREN_no
	.byte	49                              ; DW_AT_abstract_origin
	.byte	19                              ; DW_FORM_ref4
	.byte	85                              ; DW_AT_ranges
	.byte	23                              ; DW_FORM_sec_offset
	.byte	88                              ; DW_AT_call_file
	.byte	11                              ; DW_FORM_data1
	.byte	89                              ; DW_AT_call_line
	.byte	5                               ; DW_FORM_data2
	.byte	87                              ; DW_AT_call_column
	.byte	11                              ; DW_FORM_data1
	.byte	0                               ; EOM(1)
	.byte	0                               ; EOM(2)
	;; [unrolled: 1-line block ×3, first 2 shown]
	.section	.debug_info,"",@progbits
.Lcu_begin0:
	.long	.Ldebug_info_end0-.Ldebug_info_start0 ; Length of Unit
.Ldebug_info_start0:
	.short	4                               ; DWARF version number
	.long	.debug_abbrev                   ; Offset Into Abbrev. Section
	.byte	8                               ; Address Size (in bytes)
	.byte	1                               ; Abbrev [1] 0xb:0x52 DW_TAG_compile_unit
	.long	.Linfo_string0                  ; DW_AT_producer
	.short	2                               ; DW_AT_language
	.long	.Linfo_string1                  ; DW_AT_name
	.long	.Lline_table_start0             ; DW_AT_stmt_list
	.long	.Linfo_string2                  ; DW_AT_comp_dir
	.quad	.Lfunc_begin0                   ; DW_AT_low_pc
	.long	.Lfunc_end0-.Lfunc_begin0       ; DW_AT_high_pc
	.byte	2                               ; Abbrev [2] 0x2a:0x6 DW_TAG_subprogram
	.long	.Linfo_string3                  ; DW_AT_name
	.byte	1                               ; DW_AT_inline
	.byte	3                               ; Abbrev [3] 0x30:0x2c DW_TAG_subprogram
	.quad	.Lfunc_begin0                   ; DW_AT_low_pc
	.long	.Lfunc_end0-.Lfunc_begin0       ; DW_AT_high_pc
	.long	42                              ; DW_AT_abstract_origin
	.byte	4                               ; Abbrev [4] 0x41:0x1a DW_TAG_inlined_subroutine
	.long	42                              ; DW_AT_abstract_origin
	.long	.Ldebug_ranges0                 ; DW_AT_ranges
	.byte	1                               ; DW_AT_call_file
	.byte	169                             ; DW_AT_call_line
	.byte	77                              ; DW_AT_call_column
	.byte	5                               ; Abbrev [5] 0x4d:0xd DW_TAG_inlined_subroutine
	.long	42                              ; DW_AT_abstract_origin
	.long	.Ldebug_ranges1                 ; DW_AT_ranges
	.byte	2                               ; DW_AT_call_file
	.short	293                             ; DW_AT_call_line
	.byte	36                              ; DW_AT_call_column
	.byte	0                               ; End Of Children Mark
	.byte	0                               ; End Of Children Mark
	;; [unrolled: 1-line block ×3, first 2 shown]
.Ldebug_info_end0:
	.section	.debug_ranges,"",@progbits
.Ldebug_ranges0:
	.quad	.Ltmp1-.Lfunc_begin0
	.quad	.Ltmp2-.Lfunc_begin0
	;; [unrolled: 1-line block ×18, first 2 shown]
	.quad	0
	.quad	0
.Ldebug_ranges1:
	.quad	.Ltmp7-.Lfunc_begin0
	.quad	.Ltmp8-.Lfunc_begin0
	;; [unrolled: 1-line block ×16, first 2 shown]
	.quad	0
	.quad	0
	.section	.debug_str,"MS",@progbits,1
.Linfo_string0:
	.asciz	"triton"                        ; string offset=0
.Linfo_string1:
	.asciz	"rms_norm_aot.py"               ; string offset=7
.Linfo_string2:
	.asciz	"/root/src/amdgpu-assembly/repos/linkedin__Liger-Kernel/triton_aot_kernels" ; string offset=23
.Linfo_string3:
	.asciz	"_rms_norm_backward_kernel"     ; string offset=97
	.section	".note.GNU-stack","",@progbits
	.amdgpu_metadata
---
amdhsa.kernels:
  - .agpr_count:     0
    .args:
      - .address_space:  global
        .offset:         0
        .size:           8
        .value_kind:     global_buffer
      - .offset:         8
        .size:           4
        .value_kind:     by_value
      - .address_space:  global
        .offset:         16
        .size:           8
        .value_kind:     global_buffer
      - .offset:         24
        .size:           4
        .value_kind:     by_value
      - .address_space:  global
        .offset:         32
        .size:           8
        .value_kind:     global_buffer
      - .offset:         40
        .size:           4
        .value_kind:     by_value
      - .address_space:  global
        .offset:         48
        .size:           8
        .value_kind:     global_buffer
      - .offset:         56
        .size:           4
        .value_kind:     by_value
      - .address_space:  global
        .offset:         64
        .size:           8
        .value_kind:     global_buffer
      - .offset:         72
        .size:           4
        .value_kind:     by_value
      - .address_space:  global
        .offset:         80
        .size:           8
        .value_kind:     global_buffer
      - .offset:         88
        .size:           4
        .value_kind:     by_value
      - .offset:         92
        .size:           4
        .value_kind:     by_value
      - .offset:         96
        .size:           4
        .value_kind:     by_value
      - .offset:         100
        .size:           4
        .value_kind:     by_value
      - .offset:         104
        .size:           4
        .value_kind:     by_value
      - .address_space:  global
        .offset:         112
        .size:           8
        .value_kind:     global_buffer
      - .address_space:  global
        .offset:         120
        .size:           8
        .value_kind:     global_buffer
    .group_segment_fixed_size: 0
    .kernarg_segment_align: 8
    .kernarg_segment_size: 128
    .max_flat_workgroup_size: 512
    .name:           _rms_norm_backward_kernel
    .private_segment_fixed_size: 0
    .sgpr_count:     64
    .sgpr_spill_count: 0
    .symbol:         _rms_norm_backward_kernel.kd
    .uniform_work_group_size: 1
    .uses_dynamic_stack: false
    .vgpr_count:     72
    .vgpr_spill_count: 0
    .wavefront_size: 64
amdhsa.target:   amdgcn-amd-amdhsa--gfx950
amdhsa.version:
  - 1
  - 2
...

	.end_amdgpu_metadata
	.section	.debug_line,"",@progbits
.Lline_table_start0:
